;; amdgpu-corpus repo=ROCm/gfx950-gluon-tutorials kind=harvested arch=n/a opt=n/a
	.amdgcn_target "amdgcn-amd-amdhsa--gfx950"
	.amdhsa_code_object_version 5
	.text
	.globl	v5_local_prefetch               ; -- Begin function v5_local_prefetch
	.p2align	8
	.type	v5_local_prefetch,@function
v5_local_prefetch:                      ; @v5_local_prefetch
.Lfunc_begin0:
	.cfi_sections .debug_frame
	.cfi_startproc
; %bb.9:
	.file	1 "kernels/gemm/a16w16/v5_local_prefetch" "matmul_kernel.py"
	s_load_dwordx8 s[8:15], s[4:5], 0x0
	s_waitcnt lgkmcnt(0)
	s_branch .LBB0_0
	.p2align	8
; %bb.10:
.LBB0_0:
	s_mov_b32 s1, s15
	s_load_dwordx2 s[18:19], s[4:5], 0x20
	s_load_dword s17, s[4:5], 0x28
	v_and_b32_e32 v1, 0x3ff, v0
	s_nop 0
	v_readfirstlane_b32 s3, v1
	s_bfe_u32 s20, s3, 0x20006
	.file	2 "python/triton/language" "standard.py"
	s_add_i32 s0, s15, 0xff
	s_ashr_i32 s2, s0, 31
	s_lshr_b32 s2, s2, 24
	s_add_i32 s0, s0, s2
	s_ashr_i32 s0, s0, 8
	s_xor_b32 s2, s16, s0
	s_ashr_i32 s2, s2, 31
	s_abs_i32 s6, s16
	s_abs_i32 s7, s0
	v_cvt_f32_u32_e32 v2, s7
	v_rcp_iflag_f32_e32 v2, v2
	s_nop 0
	v_mul_f32_e32 v2, 0x4f7ffffe, v2
	v_cvt_u32_f32_e32 v2, v2
	s_mov_b32 s15, 0
	s_sub_i32 s21, 0, s7
	v_readfirstlane_b32 s22, v2
	s_mul_i32 s21, s21, s22
	s_mul_hi_u32 s21, s22, s21
	s_add_i32 s22, s22, s21
	s_mul_hi_u32 s21, s6, s22
	s_mul_i32 s22, s21, s7
	s_sub_i32 s6, s6, s22
	s_add_i32 s22, s21, 1
	s_sub_i32 s23, s6, s7
	s_cmp_ge_u32 s6, s7
	s_cselect_b32 s21, s22, s21
	s_cselect_b32 s6, s23, s6
	s_add_i32 s22, s21, 1
	s_cmp_ge_u32 s6, s7
	s_cselect_b32 s6, s22, s21
	s_xor_b32 s6, s6, s2
	s_sub_i32 s2, s6, s2
	s_mul_i32 s0, s2, s0
	s_sub_i32 s21, s16, s0
	v_and_b32_e32 v2, 63, v0
	v_lshl_or_b32 v18, s20, 6, v2
	v_lshlrev_b32_e32 v2, 1, v1
	v_and_b32_e32 v2, 0x70, v2
	v_or_b32_e32 v2, s20, v2
	v_or_b32_e32 v3, 4, v2
	;; [unrolled: 1-line block ×8, first 2 shown]
	v_lshlrev_b32_e32 v1, 3, v1
	v_and_b32_e32 v1, 56, v1
	s_lshl_b32 s0, s2, 8
	s_waitcnt lgkmcnt(0)
	s_mul_i32 s6, s0, s19
	s_ashr_i32 s7, s6, 31
	s_lshl_b64 s[6:7], s[6:7], 1
	s_add_u32 s16, s8, s6
	s_addc_u32 s7, s9, s7
	s_lshl_b32 s2, s21, 8
	s_mul_i32 s8, s2, s17
	s_ashr_i32 s9, s8, 31
	s_lshl_b64 s[8:9], s[8:9], 1
	s_add_u32 s8, s10, s8
	s_addc_u32 s24, s11, s9
	v_mul_lo_u32 v10, v2, s19
	v_mul_lo_u32 v11, v3, s19
	;; [unrolled: 1-line block ×16, first 2 shown]
	s_add_i32 s25, s18, 63
	s_and_b32 s17, s7, 0xffff
	s_mov_b32 s19, 0x27000
	s_mov_b32 s18, 0x7ffffffe
	s_mul_i32 s6, s20, 0x420
	s_add_i32 s26, s6, 0
	v_add_lshl_u32 v252, v10, v1, 1
	s_mov_b32 m0, s26
	s_nop 0
	buffer_load_dwordx4 v252, s[16:19], 0 offen lds
	s_add_i32 m0, s26, 0x1080
	v_add_lshl_u32 v10, v11, v1, 1
	buffer_load_dwordx4 v10, s[16:19], 0 offen lds
	s_add_i32 m0, s26, 0x2100
	v_add_lshl_u32 v11, v12, v1, 1
	;; [unrolled: 3-line block ×7, first 2 shown]
	buffer_load_dwordx4 v14, s[16:19], 0 offen lds
	s_and_b32 s9, s24, 0xffff
	s_mov_b32 s10, s18
	s_mov_b32 s11, s19
	s_add_i32 s17, 0, 0x107e0
	s_add_i32 s21, s17, s6
	v_add_lshl_u32 v15, v2, v1, 1
	s_mov_b32 m0, s21
	s_nop 0
	buffer_load_dwordx4 v15, s[8:11], 0 offen lds
	s_add_i32 m0, s21, 0x1080
	v_add_lshl_u32 v16, v3, v1, 1
	buffer_load_dwordx4 v16, s[8:11], 0 offen lds
	s_add_i32 m0, s21, 0x2100
	v_add_lshl_u32 v4, v4, v1, 1
	;; [unrolled: 3-line block ×7, first 2 shown]
	buffer_load_dwordx4 v9, s[8:11], 0 offen lds
	; asyncmark
	s_add_u32 s28, s16, 0x80
	s_addc_u32 s9, s7, 0
	s_add_u32 s20, s8, 0x80
	s_addc_u32 s10, s24, 0
	s_barrier
	s_and_b32 s29, s9, 0xffff
	s_mov_b32 s30, s18
	s_mov_b32 s31, s19
	s_add_i32 m0, s21, 0xffff7c20
	s_nop 0
	buffer_load_dwordx4 v252, s[28:31], 0 offen lds
	s_add_i32 m0, s21, 0xffff8ca0
	s_nop 0
	buffer_load_dwordx4 v10, s[28:31], 0 offen lds
	;; [unrolled: 3-line block ×8, first 2 shown]
	s_and_b32 s21, s10, 0xffff
	s_mov_b32 s22, s18
	s_mov_b32 s23, s19
	s_add_i32 m0, s26, 0x18be0
	s_nop 0
	buffer_load_dwordx4 v15, s[20:23], 0 offen lds
	s_add_i32 m0, s26, 0x19c60
	s_nop 0
	buffer_load_dwordx4 v16, s[20:23], 0 offen lds
	;; [unrolled: 3-line block ×8, first 2 shown]
	; asyncmark
	; wait_asyncmark(1)
	s_waitcnt vmcnt(16)
	s_barrier
	v_and_b32_e32 v3, 15, v0
	v_lshlrev_b32_e32 v1, 10, v3
	s_movk_i32 s9, 0xb0
	v_accvgpr_write_b32 a208, v18
	v_and_or_b32 v2, v18, s9, v1
	v_accvgpr_write_b32 a209, v3
	v_lshlrev_b32_e32 v3, 5, v3
	v_add_u32_e32 v17, v2, v3
	v_add_u32_e32 v2, 0, v17
	ds_read_b128 a[120:123], v2
	ds_read_b128 a[124:127], v2 offset:64
	ds_read_b128 a[112:115], v2 offset:256
	;; [unrolled: 1-line block ×15, first 2 shown]
	v_and_b32_e32 v0, 48, v0
	s_lshl_b32 s9, s3, 1
	s_and_b32 s9, s9, 0x80
	v_or3_b32 v0, v0, s9, v1
	v_add_u32_e32 v1, v0, v3
	v_add_u32_e32 v0, s17, v1
	ds_read_b128 a[88:91], v0
	ds_read_b128 a[92:95], v0 offset:64
	ds_read_b128 a[80:83], v0 offset:256
	;; [unrolled: 1-line block ×15, first 2 shown]
	s_cmpk_lt_i32 s25, 0x80
	s_cbranch_scc1 .LBB0_5
; %bb.1:                                ; %.lr.ph
	v_accvgpr_write_b32 a225, v1
	v_accvgpr_write_b32 a224, v17
	;; [unrolled: 1-line block ×11, first 2 shown]
	s_lshr_b32 s10, s25, 6
	s_add_u32 s8, s8, 0x100
	s_addc_u32 s9, s24, 0
	s_add_u32 s16, s16, 0x100
	s_addc_u32 s17, s7, 0
	s_add_i32 s7, s10, -2
	s_cmp_eq_u32 s10, 2
	v_accvgpr_write_b32 a211, v10
	v_accvgpr_write_b32 a212, v11
	;; [unrolled: 1-line block ×4, first 2 shown]
	s_cbranch_scc1 .LBB0_6
; %bb.2:                                ; %.lr.ph.split
	s_mov_b32 s10, 0
	v_mov_b32_e32 v0, 0
	s_mov_b32 s23, 0x27000
	s_mov_b32 s22, 0x7ffffffe
	v_mov_b32_e32 v1, v0
	v_mov_b32_e32 v2, v0
	;; [unrolled: 1-line block ×191, first 2 shown]
	v_accvgpr_write_b32 a250, v0
	v_accvgpr_write_b32 a251, v0
	;; [unrolled: 1-line block ×4, first 2 shown]
	v_mov_b32_e32 v56, v0
	v_mov_b32_e32 v57, v0
	;; [unrolled: 1-line block ×52, first 2 shown]
	v_accvgpr_write_b32 a228, v248
	v_accvgpr_write_b32 a229, v249
	;; [unrolled: 1-line block ×14, first 2 shown]
	v_accvgpr_mov_b32 a236, a213
	v_accvgpr_read_b32 v254, a214
	v_accvgpr_mov_b32 a237, a215
	v_accvgpr_read_b32 v253, a216
	v_accvgpr_mov_b32 a238, a217
	v_accvgpr_mov_b32 a242, a218
	v_accvgpr_mov_b32 a239, a219
	v_accvgpr_mov_b32 a243, a220
	v_accvgpr_mov_b32 a240, a221
	v_accvgpr_mov_b32 a244, a224
	v_accvgpr_mov_b32 a241, a225
.LBB0_3:                                ; =>This Inner Loop Header: Depth=1
	s_and_b32 s11, s10, 1
	;;#ASMSTART
	;; Region 0: 128 wmma, 16 GR, 32 LR
	;;#ASMEND
	s_waitcnt lgkmcnt(0)
	v_mfma_f32_16x16x32_f16 v[0:3], a[88:91], a[120:123], v[0:3]
	v_mfma_f32_16x16x32_f16 v[0:3], a[92:95], a[124:127], v[0:3]
	;; [unrolled: 1-line block ×33, first 2 shown]
	; wait_asyncmark(0)
	s_waitcnt vmcnt(0)
	s_barrier
	s_mul_i32 s15, s11, 0x8400
	s_add_i32 s15, s15, 0
	s_and_b32 s21, s17, 0xffff
	s_mov_b32 s20, s16
	s_add_i32 s15, s15, s6
	s_mov_b32 m0, s15
	s_nop 0
	buffer_load_dwordx4 v252, s[20:23], 0 offen lds
	v_mfma_f32_16x16x32_f16 v[192:195], a[92:95], a[108:111], v[192:195]
	v_mfma_f32_16x16x32_f16 v[184:187], a[80:83], a[104:107], v[184:187]
	v_mfma_f32_16x16x32_f16 v[184:187], a[84:87], a[108:111], v[184:187]
	v_mfma_f32_16x16x32_f16 v[180:183], a[64:67], a[104:107], v[180:183]
	s_add_i32 m0, s15, 0x1080
	s_nop 0
	buffer_load_dwordx4 v10, s[20:23], 0 offen lds
	v_mfma_f32_16x16x32_f16 v[180:183], a[68:71], a[108:111], v[180:183]
	v_mfma_f32_16x16x32_f16 v[176:179], a[56:59], a[104:107], v[176:179]
	v_mfma_f32_16x16x32_f16 v[176:179], a[60:63], a[108:111], v[176:179]
	v_mfma_f32_16x16x32_f16 v[172:175], a[48:51], a[104:107], v[172:175]
	s_add_i32 m0, s15, 0x2100
	;; [unrolled: 7-line block ×3, first 2 shown]
	v_accvgpr_read_b32 v10, a236
	buffer_load_dwordx4 v10, s[20:23], 0 offen lds
	v_mfma_f32_16x16x32_f16 v[164:167], a[36:39], a[108:111], v[164:167]
	v_mfma_f32_16x16x32_f16 v[160:163], a[24:27], a[104:107], v[160:163]
	v_mfma_f32_16x16x32_f16 v[160:163], a[28:31], a[108:111], v[160:163]
	v_mfma_f32_16x16x32_f16 v[156:159], a[88:91], a[96:99], v[156:159]
	s_add_i32 m0, s15, 0x4200
	v_accvgpr_read_b32 v10, a227
	buffer_load_dwordx4 v10, s[20:23], 0 offen lds
	v_mfma_f32_16x16x32_f16 v[156:159], a[92:95], a[100:103], v[156:159]
	v_mfma_f32_16x16x32_f16 v[152:155], a[80:83], a[96:99], v[152:155]
	v_mfma_f32_16x16x32_f16 v[152:155], a[84:87], a[100:103], v[152:155]
	v_mfma_f32_16x16x32_f16 v[148:151], a[64:67], a[96:99], v[148:151]
	s_add_i32 m0, s15, 0x5280
	;; [unrolled: 7-line block ×3, first 2 shown]
	s_nop 0
	buffer_load_dwordx4 v254, s[20:23], 0 offen lds
	v_mfma_f32_16x16x32_f16 v[140:143], a[52:55], a[100:103], v[140:143]
	v_mfma_f32_16x16x32_f16 v[136:139], a[40:43], a[96:99], v[136:139]
	;; [unrolled: 1-line block ×4, first 2 shown]
	s_add_i32 m0, s15, 0x7380
	v_accvgpr_read_b32 v10, a237
	buffer_load_dwordx4 v10, s[20:23], 0 offen lds
	v_mfma_f32_16x16x32_f16 v[132:135], a[36:39], a[100:103], v[132:135]
	v_mfma_f32_16x16x32_f16 v[128:131], a[24:27], a[96:99], v[128:131]
	;; [unrolled: 1-line block ×4, first 2 shown]
	s_and_b32 s21, s9, 0xffff
	s_mov_b32 s20, s8
	s_add_i32 m0, s15, 0x107e0
	s_nop 0
	buffer_load_dwordx4 v253, s[20:23], 0 offen lds
	v_mfma_f32_16x16x32_f16 v[124:127], a[92:95], a[20:23], v[124:127]
	v_mfma_f32_16x16x32_f16 v[120:123], a[80:83], a[16:19], v[120:123]
	v_mfma_f32_16x16x32_f16 v[120:123], a[84:87], a[20:23], v[120:123]
	v_mfma_f32_16x16x32_f16 v[116:119], a[64:67], a[16:19], v[116:119]
	s_add_i32 m0, s15, 0x11860
	v_accvgpr_read_b32 v10, a238
	buffer_load_dwordx4 v10, s[20:23], 0 offen lds
	v_mfma_f32_16x16x32_f16 v[116:119], a[68:71], a[20:23], v[116:119]
	v_mfma_f32_16x16x32_f16 v[112:115], a[56:59], a[16:19], v[112:115]
	v_mfma_f32_16x16x32_f16 v[112:115], a[60:63], a[20:23], v[112:115]
	v_mfma_f32_16x16x32_f16 v[108:111], a[48:51], a[16:19], v[108:111]
	s_add_i32 m0, s15, 0x128e0
	v_accvgpr_read_b32 v10, a242
	;; [unrolled: 7-line block ×5, first 2 shown]
	buffer_load_dwordx4 v10, s[20:23], 0 offen lds
	v_mfma_f32_16x16x32_f16 v[84:87], a[68:71], a[4:7], v[84:87]
	v_mfma_f32_16x16x32_f16 v[80:83], a[56:59], a[0:3], v[80:83]
	;; [unrolled: 1-line block ×4, first 2 shown]
	s_add_i32 m0, s15, 0x16ae0
	s_nop 0
	buffer_load_dwordx4 v8, s[20:23], 0 offen lds
	v_mfma_f32_16x16x32_f16 v[76:79], a[52:55], a[4:7], v[76:79]
	v_mfma_f32_16x16x32_f16 v[72:75], a[40:43], a[0:3], v[72:75]
	;; [unrolled: 1-line block ×4, first 2 shown]
	s_add_i32 m0, s15, 0x17b60
	s_nop 0
	buffer_load_dwordx4 v9, s[20:23], 0 offen lds
	v_mfma_f32_16x16x32_f16 v[68:71], a[36:39], a[4:7], v[68:71]
	; asyncmark
	s_lshl_b32 s11, s11, 14
	s_xor_b32 s11, s11, 0x4000
	s_lshr_b32 s15, s11, 5
	s_or_b32 s15, s15, s11
	s_lshl1_add_u32 s11, s15, 0
	s_barrier
	v_accvgpr_read_b32 v8, a244
	v_add_u32_e32 v8, s11, v8
	ds_read_b128 a[120:123], v8
	v_mfma_f32_16x16x32_f16 v[64:67], a[24:27], a[0:3], v[64:67]
	ds_read_b128 a[124:127], v8 offset:64
	v_mfma_f32_16x16x32_f16 v[64:67], a[28:31], a[4:7], v[64:67]
	ds_read_b128 a[112:115], v8 offset:256
	;; [unrolled: 2-line block ×15, first 2 shown]
	v_mfma_f32_16x16x32_f16 v[36:39], a[36:39], a[76:79], v[36:39]
	v_accvgpr_read_b32 v8, a241
	v_add_u32_e32 v8, s11, v8
	v_accvgpr_write_b32 a210, v252
	v_add_u32_e32 v252, 0x107e0, v8
	ds_read_b128 a[144:147], v252
	v_mfma_f32_16x16x32_f16 v[32:35], a[24:27], a[72:75], v[32:35]
	ds_read_b128 a[148:151], v252 offset:64
	v_mfma_f32_16x16x32_f16 v[32:35], a[28:31], a[76:79], v[32:35]
	ds_read_b128 a[152:155], v252 offset:256
	;; [unrolled: 2-line block ×15, first 2 shown]
	v_accvgpr_read_b32 v252, a210
	v_mfma_f32_16x16x32_f16 a[232:235], a[36:39], a[12:15], a[232:235]
	v_mfma_f32_16x16x32_f16 a[8:11], a[24:27], a[8:11], a[246:249]
	;; [unrolled: 1-line block ×3, first 2 shown]
	v_accvgpr_read_b32 v9, a223
	v_accvgpr_read_b32 v8, a222
	;; [unrolled: 1-line block ×4, first 2 shown]
	s_add_u32 s16, s16, 0x80
	s_addc_u32 s17, s17, 0
	s_add_u32 s8, s8, 0x80
	s_addc_u32 s9, s9, 0
	s_add_i32 s10, s10, 1
	s_waitcnt lgkmcnt(14)
	v_accvgpr_mov_b32 a72, a128
	v_accvgpr_mov_b32 a73, a129
	;; [unrolled: 1-line block ×24, first 2 shown]
	s_waitcnt lgkmcnt(13)
	v_accvgpr_mov_b32 a80, a152
	v_accvgpr_mov_b32 a81, a153
	v_accvgpr_mov_b32 a82, a154
	v_accvgpr_mov_b32 a83, a155
	s_waitcnt lgkmcnt(12)
	v_accvgpr_mov_b32 a84, a156
	v_accvgpr_mov_b32 a85, a157
	v_accvgpr_mov_b32 a86, a158
	v_accvgpr_mov_b32 a87, a159
	;; [unrolled: 5-line block ×14, first 2 shown]
	s_cmp_lg_u32 s7, s10
	s_cbranch_scc1 .LBB0_3
; %bb.4:                                ; %Flow
	v_accvgpr_mov_b32 a132, a228
	v_accvgpr_mov_b32 a133, a229
	;; [unrolled: 1-line block ×8, first 2 shown]
	s_mov_b32 s15, s7
	v_accvgpr_read_b32 v253, a227
	v_accvgpr_read_b32 v254, a226
	s_branch .LBB0_7
.LBB0_5:
	v_accvgpr_write_b32 a131, 0
	v_accvgpr_write_b32 a130, 0
	;; [unrolled: 1-line block ×64, first 2 shown]
	v_mov_b32_e32 v67, 0
	v_mov_b32_e32 v66, 0
	;; [unrolled: 1-line block ×188, first 2 shown]
	v_accvgpr_write_b32 a195, 0
	v_accvgpr_write_b32 a194, 0
	;; [unrolled: 1-line block ×4, first 2 shown]
	s_branch .LBB0_8
.LBB0_6:
	v_accvgpr_write_b32 a249, 0
	v_accvgpr_mov_b32 a248, a249
	v_accvgpr_mov_b32 a247, a249
	;; [unrolled: 1-line block ×3, first 2 shown]
	v_accvgpr_read_b32 v3, a249
	v_accvgpr_read_b32 v2, a249
	v_accvgpr_read_b32 v1, a249
	v_accvgpr_read_b32 v0, a249
	v_accvgpr_write_b32 a131, v3
	v_accvgpr_write_b32 a130, v2
	;; [unrolled: 1-line block ×8, first 2 shown]
	v_accvgpr_read_b32 v15, a249
	v_accvgpr_read_b32 v14, a249
	;; [unrolled: 1-line block ×48, first 2 shown]
	v_accvgpr_mov_b32 a253, a249
	v_accvgpr_mov_b32 a252, a249
	;; [unrolled: 1-line block ×4, first 2 shown]
	v_accvgpr_read_b32 v67, a249
	v_accvgpr_read_b32 v66, a249
	;; [unrolled: 1-line block ×188, first 2 shown]
.LBB0_7:                                ; %._crit_edge.loopexit.peel.begin
	s_and_b32 s20, s15, 1
	s_waitcnt lgkmcnt(14)
	v_mfma_f32_16x16x32_f16 v[0:3], a[88:91], a[120:123], v[0:3]
	v_mfma_f32_16x16x32_f16 v[0:3], a[92:95], a[124:127], v[0:3]
	s_nop 7
	v_accvgpr_write_b32 a195, v3
	v_accvgpr_write_b32 a194, v2
	v_accvgpr_write_b32 a193, v1
	v_accvgpr_write_b32 a192, v0
	s_waitcnt lgkmcnt(13)
	v_mfma_f32_16x16x32_f16 v[4:7], a[80:83], a[120:123], v[4:7]
	s_waitcnt lgkmcnt(12)
	v_mfma_f32_16x16x32_f16 v[4:7], a[84:87], a[124:127], v[4:7]
	;; [unrolled: 2-line block ×14, first 2 shown]
	v_mfma_f32_16x16x32_f16 v[8:11], a[88:91], a[112:115], v[220:223]
	v_mfma_f32_16x16x32_f16 v[220:223], a[92:95], a[116:119], v[8:11]
	;; [unrolled: 1-line block ×84, first 2 shown]
	s_nop 7
	v_accvgpr_write_b32 a143, v3
	v_accvgpr_write_b32 a142, v2
	v_accvgpr_write_b32 a141, v1
	v_accvgpr_write_b32 a140, v0
	v_mfma_f32_16x16x32_f16 v[8:11], a[64:67], a[72:75], v[52:55]
	v_mfma_f32_16x16x32_f16 v[0:3], a[68:71], a[76:79], v[8:11]
	s_nop 7
	v_accvgpr_write_b32 a147, v3
	v_accvgpr_write_b32 a146, v2
	v_accvgpr_write_b32 a145, v1
	v_accvgpr_write_b32 a144, v0
	v_mfma_f32_16x16x32_f16 v[8:11], a[56:59], a[72:75], v[48:51]
	v_mfma_f32_16x16x32_f16 v[0:3], a[60:63], a[76:79], v[8:11]
	;; [unrolled: 7-line block ×11, first 2 shown]
	s_nop 7
	v_accvgpr_write_b32 a187, v3
	v_accvgpr_write_b32 a186, v2
	v_accvgpr_write_b32 a185, v1
	v_accvgpr_write_b32 a184, v0
	v_accvgpr_mov_b32 a0, a132
	v_accvgpr_mov_b32 a1, a133
	v_accvgpr_mov_b32 a2, a134
	v_accvgpr_mov_b32 a3, a135
	s_nop 1
	v_mfma_f32_16x16x32_f16 a[0:3], a[40:43], a[8:11], a[0:3]
	v_mfma_f32_16x16x32_f16 a[132:135], a[44:47], a[12:15], a[0:3]
	s_nop 6
	v_accvgpr_mov_b32 a0, a128
	v_accvgpr_mov_b32 a1, a129
	;; [unrolled: 1-line block ×4, first 2 shown]
	s_nop 1
	v_mfma_f32_16x16x32_f16 a[0:3], a[32:35], a[8:11], a[0:3]
	v_mfma_f32_16x16x32_f16 a[188:191], a[36:39], a[12:15], a[0:3]
	v_mfma_f32_16x16x32_f16 a[128:131], a[24:27], a[8:11], a[246:249]
	v_mfma_f32_16x16x32_f16 a[128:131], a[28:31], a[12:15], a[128:131]
	; wait_asyncmark(0)
	s_waitcnt vmcnt(0)
	s_barrier
	s_cmp_eq_u32 s15, s7
	s_cselect_b64 vcc, -1, 0
	s_mul_i32 s7, s20, 0x8400
	s_add_i32 s7, s7, 0
	s_and_b32 s17, s17, 0xffff
	s_mov_b32 s19, 0x27000
	s_mov_b32 s18, 0x7ffffffe
	s_add_i32 s6, s7, s6
	v_bfrev_b32_e32 v0, 1
	v_cndmask_b32_e32 v1, v252, v0, vcc
	s_mov_b32 m0, s6
	s_nop 0
	buffer_load_dwordx4 v1, s[16:19], 0 offen lds
	s_add_i32 m0, s6, 0x1080
	v_accvgpr_read_b32 v1, a211
	v_cndmask_b32_e32 v1, v1, v0, vcc
	buffer_load_dwordx4 v1, s[16:19], 0 offen lds
	s_add_i32 m0, s6, 0x2100
	v_accvgpr_read_b32 v1, a212
	v_cndmask_b32_e32 v1, v1, v0, vcc
	buffer_load_dwordx4 v1, s[16:19], 0 offen lds
	s_add_i32 m0, s6, 0x3180
	v_accvgpr_read_b32 v1, a213
	v_cndmask_b32_e32 v1, v1, v0, vcc
	buffer_load_dwordx4 v1, s[16:19], 0 offen lds
	s_add_i32 m0, s6, 0x4200
	v_cndmask_b32_e32 v1, v253, v0, vcc
	buffer_load_dwordx4 v1, s[16:19], 0 offen lds
	s_add_i32 m0, s6, 0x5280
	v_cndmask_b32_e32 v1, v254, v0, vcc
	buffer_load_dwordx4 v1, s[16:19], 0 offen lds
	s_add_i32 m0, s6, 0x6300
	v_accvgpr_read_b32 v1, a214
	v_cndmask_b32_e32 v1, v1, v0, vcc
	buffer_load_dwordx4 v1, s[16:19], 0 offen lds
	s_add_i32 m0, s6, 0x7380
	v_accvgpr_read_b32 v1, a215
	v_cndmask_b32_e32 v1, v1, v0, vcc
	buffer_load_dwordx4 v1, s[16:19], 0 offen lds
	s_and_b32 s9, s9, 0xffff
	s_mov_b32 s10, s18
	s_mov_b32 s11, s19
	s_add_i32 m0, s6, 0x107e0
	v_accvgpr_read_b32 v1, a216
	v_cndmask_b32_e32 v1, v1, v0, vcc
	buffer_load_dwordx4 v1, s[8:11], 0 offen lds
	s_add_i32 m0, s6, 0x11860
	v_accvgpr_read_b32 v1, a217
	v_cndmask_b32_e32 v1, v1, v0, vcc
	buffer_load_dwordx4 v1, s[8:11], 0 offen lds
	;; [unrolled: 4-line block ×8, first 2 shown]
	; asyncmark
	s_lshl_b32 s6, s20, 14
	s_xor_b32 s6, s6, 0x4000
	s_lshr_b32 s7, s6, 5
	s_or_b32 s7, s7, s6
	s_lshl1_add_u32 s6, s7, 0
	s_barrier
	v_accvgpr_read_b32 v0, a224
	v_add_u32_e32 v0, s6, v0
	ds_read_b128 a[120:123], v0
	ds_read_b128 a[124:127], v0 offset:64
	ds_read_b128 a[112:115], v0 offset:256
	ds_read_b128 a[116:119], v0 offset:320
	ds_read_b128 a[104:107], v0 offset:512
	ds_read_b128 a[108:111], v0 offset:576
	ds_read_b128 a[96:99], v0 offset:768
	ds_read_b128 a[100:103], v0 offset:832
	ds_read_b128 a[16:19], v0 offset:16896
	ds_read_b128 a[20:23], v0 offset:16960
	ds_read_b128 a[0:3], v0 offset:17152
	ds_read_b128 a[4:7], v0 offset:17216
	ds_read_b128 a[72:75], v0 offset:17408
	ds_read_b128 a[76:79], v0 offset:17472
	ds_read_b128 a[8:11], v0 offset:17664
	ds_read_b128 a[12:15], v0 offset:17728
	v_accvgpr_read_b32 v0, a225
	v_add_u32_e32 v0, s6, v0
	v_add_u32_e32 v0, 0x107e0, v0
	ds_read_b128 a[88:91], v0
	ds_read_b128 a[92:95], v0 offset:64
	ds_read_b128 a[80:83], v0 offset:256
	;; [unrolled: 1-line block ×15, first 2 shown]
.LBB0_8:                                ; %Flow388
	s_load_dword s4, s[4:5], 0x2c
	s_lshr_b32 s3, s3, 6
	s_waitcnt lgkmcnt(0)
	v_mfma_f32_16x16x32_f16 a[192:195], a[88:91], a[120:123], a[192:195]
	v_mfma_f32_16x16x32_f16 a[192:195], a[92:95], a[124:127], a[192:195]
	;; [unrolled: 1-line block ×4, first 2 shown]
	s_nop 7
	v_accvgpr_write_b32 a199, v3
	v_accvgpr_write_b32 a198, v2
	;; [unrolled: 1-line block ×4, first 2 shown]
	v_mfma_f32_16x16x32_f16 v[244:247], a[64:67], a[120:123], v[244:247]
	v_mfma_f32_16x16x32_f16 v[244:247], a[68:71], a[124:127], v[244:247]
	;; [unrolled: 1-line block ×30, first 2 shown]
	s_nop 7
	v_accvgpr_write_b32 a115, v3
	v_accvgpr_write_b32 a114, v2
	;; [unrolled: 1-line block ×4, first 2 shown]
	v_mfma_f32_16x16x32_f16 v[184:187], a[80:83], a[104:107], v[184:187]
	v_mfma_f32_16x16x32_f16 v[184:187], a[84:87], a[108:111], v[184:187]
	;; [unrolled: 1-line block ×62, first 2 shown]
	v_accvgpr_read_b32 v0, a136
	v_accvgpr_read_b32 v1, a137
	v_accvgpr_read_b32 v2, a138
	v_accvgpr_read_b32 v3, a139
	s_nop 1
	v_mfma_f32_16x16x32_f16 v[68:71], a[88:91], a[72:75], v[0:3]
	v_mfma_f32_16x16x32_f16 v[68:71], a[92:95], a[76:79], v[68:71]
	s_nop 1
	v_accvgpr_read_b32 v0, a140
	v_accvgpr_read_b32 v1, a141
	v_accvgpr_read_b32 v2, a142
	v_accvgpr_read_b32 v3, a143
	s_nop 1
	v_mfma_f32_16x16x32_f16 v[72:75], a[80:83], a[72:75], v[0:3]
	v_mfma_f32_16x16x32_f16 v[72:75], a[84:87], a[76:79], v[72:75]
	s_nop 1
	;; [unrolled: 8-line block ×16, first 2 shown]
	v_accvgpr_read_b32 v0, a192
	v_accvgpr_read_b32 v1, a193
	;; [unrolled: 1-line block ×4, first 2 shown]
	s_nop 0
	v_cvt_pk_f16_f32 v126, v0, v1
	v_cvt_pk_f16_f32 v127, v2, v3
	v_accvgpr_read_b32 v0, a196
	v_accvgpr_read_b32 v1, a197
	v_accvgpr_read_b32 v2, a198
	v_accvgpr_read_b32 v3, a199
	v_cvt_pk_f16_f32 v124, v0, v1
	v_cvt_pk_f16_f32 v125, v2, v3
	v_cvt_pk_f16_f32 v252, v244, v245
	v_cvt_pk_f16_f32 v253, v246, v247
	v_cvt_pk_f16_f32 v244, v240, v241
	v_cvt_pk_f16_f32 v245, v242, v243
	v_cvt_pk_f16_f32 v240, v236, v237
	v_cvt_pk_f16_f32 v241, v238, v239
	v_cvt_pk_f16_f32 v236, v232, v233
	v_cvt_pk_f16_f32 v237, v234, v235
	v_cvt_pk_f16_f32 v232, v228, v229
	v_cvt_pk_f16_f32 v233, v230, v231
	v_cvt_pk_f16_f32 v228, v224, v225
	v_cvt_pk_f16_f32 v229, v226, v227
	v_cvt_pk_f16_f32 v224, v220, v221
	v_cvt_pk_f16_f32 v225, v222, v223
	v_cvt_pk_f16_f32 v220, v216, v217
	v_cvt_pk_f16_f32 v221, v218, v219
	v_cvt_pk_f16_f32 v216, v212, v213
	v_cvt_pk_f16_f32 v217, v214, v215
	v_cvt_pk_f16_f32 v212, v208, v209
	v_cvt_pk_f16_f32 v213, v210, v211
	v_cvt_pk_f16_f32 v208, v204, v205
	v_cvt_pk_f16_f32 v209, v206, v207
	v_cvt_pk_f16_f32 v204, v200, v201
	v_cvt_pk_f16_f32 v205, v202, v203
	v_cvt_pk_f16_f32 v200, v196, v197
	v_cvt_pk_f16_f32 v201, v198, v199
	v_cvt_pk_f16_f32 v196, v188, v189
	v_cvt_pk_f16_f32 v197, v190, v191
	v_accvgpr_read_b32 v0, a112
	v_accvgpr_read_b32 v1, a113
	;; [unrolled: 1-line block ×4, first 2 shown]
	v_cvt_pk_f16_f32 v190, v0, v1
	v_cvt_pk_f16_f32 v191, v2, v3
	v_cvt_pk_f16_f32 v188, v184, v185
	v_cvt_pk_f16_f32 v189, v186, v187
	v_cvt_pk_f16_f32 v184, v180, v181
	v_cvt_pk_f16_f32 v185, v182, v183
	v_cvt_pk_f16_f32 v180, v176, v177
	v_cvt_pk_f16_f32 v181, v178, v179
	v_cvt_pk_f16_f32 v176, v172, v173
	v_cvt_pk_f16_f32 v177, v174, v175
	v_cvt_pk_f16_f32 v172, v168, v169
	v_cvt_pk_f16_f32 v173, v170, v171
	v_cvt_pk_f16_f32 v168, v164, v165
	v_cvt_pk_f16_f32 v169, v166, v167
	v_cvt_pk_f16_f32 v164, v160, v161
	v_cvt_pk_f16_f32 v165, v162, v163
	v_cvt_pk_f16_f32 v162, v192, v193
	v_cvt_pk_f16_f32 v163, v194, v195
	v_cvt_pk_f16_f32 v160, v156, v157
	v_cvt_pk_f16_f32 v161, v158, v159
	v_cvt_pk_f16_f32 v158, v152, v153
	v_cvt_pk_f16_f32 v159, v154, v155
	v_cvt_pk_f16_f32 v156, v148, v149
	v_cvt_pk_f16_f32 v157, v150, v151
	v_cvt_pk_f16_f32 v154, v144, v145
	v_cvt_pk_f16_f32 v155, v146, v147
	v_cvt_pk_f16_f32 v152, v140, v141
	v_cvt_pk_f16_f32 v153, v142, v143
	v_cvt_pk_f16_f32 v150, v136, v137
	v_cvt_pk_f16_f32 v151, v138, v139
	v_cvt_pk_f16_f32 v148, v132, v133
	v_cvt_pk_f16_f32 v149, v134, v135
	v_cvt_pk_f16_f32 v146, v248, v249
	v_cvt_pk_f16_f32 v147, v250, v251
	v_cvt_pk_f16_f32 v144, v128, v129
	v_cvt_pk_f16_f32 v145, v130, v131
	v_cvt_pk_f16_f32 v142, v44, v45
	v_cvt_pk_f16_f32 v143, v46, v47
	v_cvt_pk_f16_f32 v140, v16, v17
	v_cvt_pk_f16_f32 v141, v18, v19
	v_cvt_pk_f16_f32 v138, v20, v21
	v_cvt_pk_f16_f32 v139, v22, v23
	v_cvt_pk_f16_f32 v136, v24, v25
	v_cvt_pk_f16_f32 v137, v26, v27
	v_cvt_pk_f16_f32 v134, v28, v29
	v_cvt_pk_f16_f32 v135, v30, v31
	v_cvt_pk_f16_f32 v132, v32, v33
	v_cvt_pk_f16_f32 v133, v34, v35
	v_cvt_pk_f16_f32 v46, v36, v37
	v_cvt_pk_f16_f32 v47, v38, v39
	v_cvt_pk_f16_f32 v44, v40, v41
	v_cvt_pk_f16_f32 v45, v42, v43
	v_cvt_pk_f16_f32 v42, v12, v13
	v_cvt_pk_f16_f32 v43, v14, v15
	v_cvt_pk_f16_f32 v40, v48, v49
	v_cvt_pk_f16_f32 v41, v50, v51
	v_cvt_pk_f16_f32 v38, v52, v53
	v_cvt_pk_f16_f32 v39, v54, v55
	v_cvt_pk_f16_f32 v36, v56, v57
	v_cvt_pk_f16_f32 v37, v58, v59
	v_cvt_pk_f16_f32 v34, v60, v61
	v_cvt_pk_f16_f32 v35, v62, v63
	v_cvt_pk_f16_f32 v32, v64, v65
	v_cvt_pk_f16_f32 v33, v66, v67
	v_cvt_pk_f16_f32 v30, v68, v69
	v_cvt_pk_f16_f32 v31, v70, v71
	v_cvt_pk_f16_f32 v28, v72, v73
	v_cvt_pk_f16_f32 v29, v74, v75
	v_cvt_pk_f16_f32 v26, v76, v77
	v_cvt_pk_f16_f32 v27, v78, v79
	v_cvt_pk_f16_f32 v24, v80, v81
	v_cvt_pk_f16_f32 v25, v82, v83
	v_cvt_pk_f16_f32 v22, v84, v85
	v_cvt_pk_f16_f32 v23, v86, v87
	v_cvt_pk_f16_f32 v20, v88, v89
	v_cvt_pk_f16_f32 v21, v90, v91
	v_cvt_pk_f16_f32 v18, v92, v93
	v_cvt_pk_f16_f32 v19, v94, v95
	v_cvt_pk_f16_f32 v16, v96, v97
	v_cvt_pk_f16_f32 v17, v98, v99
	v_cvt_pk_f16_f32 v14, v100, v101
	v_cvt_pk_f16_f32 v15, v102, v103
	v_cvt_pk_f16_f32 v12, v104, v105
	v_cvt_pk_f16_f32 v13, v106, v107
	v_cvt_pk_f16_f32 v72, v108, v109
	v_cvt_pk_f16_f32 v73, v110, v111
	v_cvt_pk_f16_f32 v70, v112, v113
	v_cvt_pk_f16_f32 v71, v114, v115
	v_cvt_pk_f16_f32 v52, v116, v117
	v_cvt_pk_f16_f32 v53, v118, v119
	v_cvt_pk_f16_f32 v50, v120, v121
	v_cvt_pk_f16_f32 v51, v122, v123
	v_cvt_pk_f16_f32 v48, v8, v9
	v_cvt_pk_f16_f32 v49, v10, v11
	v_cvt_pk_f16_f32 v0, v4, v5
	v_cvt_pk_f16_f32 v1, v6, v7
	s_lshl_b32 s3, s3, 3
	v_accvgpr_read_b32 v2, a209
	v_and_or_b32 v2, s3, 16, v2
	v_or_b32_e32 v3, 32, v2
	v_or_b32_e32 v4, 64, v2
	;; [unrolled: 1-line block ×7, first 2 shown]
	v_accvgpr_read_b32 v56, a208
	v_lshrrev_b32_e32 v56, 2, v56
	v_and_b32_e32 v56, 28, v56
	v_or_b32_e32 v57, 32, v56
	v_or_b32_e32 v58, 64, v56
	;; [unrolled: 1-line block ×7, first 2 shown]
	s_mul_i32 s6, s0, s4
	s_ashr_i32 s7, s6, 31
	s_lshl_b64 s[6:7], s[6:7], 1
	s_add_u32 s0, s12, s6
	s_addc_u32 s5, s13, s7
	s_ashr_i32 s3, s2, 31
	s_lshl_b64 s[2:3], s[2:3], 1
	s_add_u32 s0, s0, s2
	s_addc_u32 s33, s5, s3
	v_mul_lo_u32 v61, v2, s4
	v_mul_lo_u32 v62, v3, s4
	;; [unrolled: 1-line block ×8, first 2 shown]
	v_cmp_gt_i32_e32 vcc, s14, v2
	v_cmp_gt_i32_e64 s[12:13], s14, v3
	v_cmp_gt_i32_e64 s[16:17], s14, v4
	;; [unrolled: 1-line block ×15, first 2 shown]
	s_and_b64 s[30:31], vcc, s[2:3]
	s_and_b64 s[34:35], vcc, s[14:15]
	;; [unrolled: 1-line block ×7, first 2 shown]
	s_and_b64 vcc, vcc, s[24:25]
	s_and_b64 s[48:49], s[12:13], s[2:3]
	s_and_b64 s[50:51], s[12:13], s[14:15]
	;; [unrolled: 1-line block ×29, first 2 shown]
                                        ; implicit-def: $vgpr255 : SGPR spill to VGPR lane
	v_writelane_b32 v255, s18, 0
	s_nop 1
	v_writelane_b32 v255, s19, 1
	s_and_b64 s[18:19], s[20:21], s[10:11]
	v_writelane_b32 v255, s18, 2
	s_nop 1
	v_writelane_b32 v255, s19, 3
	s_and_b64 s[18:19], s[20:21], s[44:45]
	;; [unrolled: 4-line block ×23, first 2 shown]
	s_and_b64 s[14:15], s[28:29], s[8:9]
	s_and_b64 s[8:9], s[28:29], s[10:11]
	s_and_b64 s[6:7], s[28:29], s[44:45]
	s_and_b64 s[4:5], s[28:29], s[24:25]
	s_and_b32 s1, s33, 0xffff
	s_mov_b32 s3, 0x27000
	s_mov_b32 s2, 0x7ffffffe
	v_add_lshl_u32 v2, v56, v61, 1
	v_bfrev_b32_e32 v3, 1
	v_cndmask_b32_e64 v2, v3, v2, s[30:31]
	buffer_store_dwordx2 v[126:127], v2, s[0:3], 0 offen
	v_add_lshl_u32 v2, v57, v61, 1
	v_cndmask_b32_e64 v2, v3, v2, s[34:35]
	buffer_store_dwordx2 v[124:125], v2, s[0:3], 0 offen
	v_add_lshl_u32 v2, v58, v61, 1
	;; [unrolled: 3-line block ×7, first 2 shown]
	v_cndmask_b32_e32 v2, v3, v2, vcc
	buffer_store_dwordx2 v[228:229], v2, s[0:3], 0 offen
	v_add_lshl_u32 v2, v62, v56, 1
	v_cndmask_b32_e64 v2, v3, v2, s[48:49]
	buffer_store_dwordx2 v[224:225], v2, s[0:3], 0 offen
	v_add_lshl_u32 v2, v57, v62, 1
	v_cndmask_b32_e64 v2, v3, v2, s[50:51]
	;; [unrolled: 3-line block ×28, first 2 shown]
	buffer_store_dwordx2 v[140:141], v2, s[0:3], 0 offen
	v_add_lshl_u32 v2, v60, v65, 1
	v_readlane_b32 s10, v255, 0
	v_readlane_b32 s11, v255, 1
	s_nop 1
	v_cndmask_b32_e64 v2, v3, v2, s[10:11]
	buffer_store_dwordx2 v[138:139], v2, s[0:3], 0 offen
	v_add_lshl_u32 v2, v130, v65, 1
	v_readlane_b32 s10, v255, 2
	v_readlane_b32 s11, v255, 3
	s_nop 1
	v_cndmask_b32_e64 v2, v3, v2, s[10:11]
	;; [unrolled: 6-line block ×23, first 2 shown]
	buffer_store_dwordx2 v[72:73], v2, s[0:3], 0 offen
	v_add_lshl_u32 v2, v59, v68, 1
	v_cndmask_b32_e64 v2, v3, v2, s[26:27]
	buffer_store_dwordx2 v[70:71], v2, s[0:3], 0 offen
	v_add_lshl_u32 v2, v60, v68, 1
	v_cndmask_b32_e64 v2, v3, v2, s[14:15]
	;; [unrolled: 3-line block ×5, first 2 shown]
	buffer_store_dwordx2 v[0:1], v2, s[0:3], 0 offen
	s_endpgm
	.section	.rodata,"a",@progbits
	.p2align	6, 0x0
	.amdhsa_kernel v5_local_prefetch
		.amdhsa_group_segment_fixed_size 0
		.amdhsa_private_segment_fixed_size 0
		.amdhsa_kernarg_size 320
		.amdhsa_user_sgpr_count 16
		.amdhsa_user_sgpr_dispatch_ptr 1
		.amdhsa_user_sgpr_queue_ptr 1
		.amdhsa_user_sgpr_kernarg_segment_ptr 1
		.amdhsa_user_sgpr_dispatch_id 1
		.amdhsa_user_sgpr_kernarg_preload_length 8
		.amdhsa_user_sgpr_kernarg_preload_offset 0
		.amdhsa_user_sgpr_private_segment_size 0
		.amdhsa_uses_dynamic_stack 0
		.amdhsa_enable_private_segment 0
		.amdhsa_system_sgpr_workgroup_id_x 1
		.amdhsa_system_sgpr_workgroup_id_y 1
		.amdhsa_system_sgpr_workgroup_id_z 1
		.amdhsa_system_sgpr_workgroup_info 0
		.amdhsa_system_vgpr_workitem_id 2
		.amdhsa_next_free_vgpr 510
		.amdhsa_next_free_sgpr 100
		.amdhsa_accum_offset 256
		.amdhsa_reserve_vcc 1
		.amdhsa_reserve_xnack_mask 1
		.amdhsa_float_round_mode_32 0
		.amdhsa_float_round_mode_16_64 0
		.amdhsa_float_denorm_mode_32 3
		.amdhsa_float_denorm_mode_16_64 3
		.amdhsa_dx10_clamp 1
		.amdhsa_ieee_mode 1
		.amdhsa_fp16_overflow 0
		.amdhsa_tg_split 0
		.amdhsa_exception_fp_ieee_invalid_op 0
		.amdhsa_exception_fp_denorm_src 0
		.amdhsa_exception_fp_ieee_div_zero 0
		.amdhsa_exception_fp_ieee_overflow 0
		.amdhsa_exception_fp_ieee_underflow 0
		.amdhsa_exception_fp_ieee_inexact 0
		.amdhsa_exception_int_div_zero 0
	.end_amdhsa_kernel
	.text
.Lfunc_end0:
	.size	v5_local_prefetch, .Lfunc_end0-v5_local_prefetch
	.cfi_endproc
                                        ; -- End function
	.set v5_local_prefetch.num_vgpr, 256
	.set v5_local_prefetch.num_agpr, 254
	.set v5_local_prefetch.numbered_sgpr, 100
	.set v5_local_prefetch.num_named_barrier, 0
	.set v5_local_prefetch.private_seg_size, 0
	.set v5_local_prefetch.uses_vcc, 1
	.set v5_local_prefetch.uses_flat_scratch, 0
	.set v5_local_prefetch.has_dyn_sized_stack, 0
	.set v5_local_prefetch.has_recursion, 0
	.set v5_local_prefetch.has_indirect_call, 0
	.section	.AMDGPU.csdata,"",@progbits
; Kernel info:
; codeLenInByte = 17232
; TotalNumSgprs: 106
; NumVgprs: 256
; NumAgprs: 254
; TotalNumVgprs: 510
; ScratchSize: 0
; MemoryBound: 0
; FloatMode: 240
; IeeeMode: 1
; LDSByteSize: 0 bytes/workgroup (compile time only)
; SGPRBlocks: 13
; VGPRBlocks: 63
; NumSGPRsForWavesPerEU: 106
; NumVGPRsForWavesPerEU: 510
; AccumOffset: 256
; Occupancy: 1
; WaveLimiterHint : 0
; COMPUTE_PGM_RSRC2:SCRATCH_EN: 0
; COMPUTE_PGM_RSRC2:USER_SGPR: 16
; COMPUTE_PGM_RSRC2:TRAP_HANDLER: 0
; COMPUTE_PGM_RSRC2:TGID_X_EN: 1
; COMPUTE_PGM_RSRC2:TGID_Y_EN: 1
; COMPUTE_PGM_RSRC2:TGID_Z_EN: 1
; COMPUTE_PGM_RSRC2:TIDIG_COMP_CNT: 2
; COMPUTE_PGM_RSRC3_GFX90A:ACCUM_OFFSET: 63
; COMPUTE_PGM_RSRC3_GFX90A:TG_SPLIT: 0
	.text
	.p2alignl 6, 3212836864
	.fill 256, 4, 3212836864
	.section	.AMDGPU.gpr_maximums,"",@progbits
	.set amdgpu.max_num_vgpr, 0
	.set amdgpu.max_num_agpr, 0
	.set amdgpu.max_num_sgpr, 0
	.set amdgpu.max_num_named_barrier, 0
	.text
	.section	.debug_abbrev,"",@progbits
	.byte	1                               ; Abbreviation Code
	.byte	17                              ; DW_TAG_compile_unit
	.byte	1                               ; DW_CHILDREN_yes
	.byte	37                              ; DW_AT_producer
	.byte	14                              ; DW_FORM_strp
	.byte	19                              ; DW_AT_language
	.byte	5                               ; DW_FORM_data2
	.byte	3                               ; DW_AT_name
	.byte	14                              ; DW_FORM_strp
	.byte	16                              ; DW_AT_stmt_list
	.byte	23                              ; DW_FORM_sec_offset
	.byte	27                              ; DW_AT_comp_dir
	.byte	14                              ; DW_FORM_strp
	.byte	17                              ; DW_AT_low_pc
	.byte	1                               ; DW_FORM_addr
	.byte	18                              ; DW_AT_high_pc
	.byte	6                               ; DW_FORM_data4
	.byte	0                               ; EOM(1)
	.byte	0                               ; EOM(2)
	.byte	2                               ; Abbreviation Code
	.byte	46                              ; DW_TAG_subprogram
	.byte	0                               ; DW_CHILDREN_no
	.byte	3                               ; DW_AT_name
	.byte	14                              ; DW_FORM_strp
	.byte	32                              ; DW_AT_inline
	.byte	11                              ; DW_FORM_data1
	.byte	0                               ; EOM(1)
	.byte	0                               ; EOM(2)
	.byte	3                               ; Abbreviation Code
	.byte	46                              ; DW_TAG_subprogram
	.byte	1                               ; DW_CHILDREN_yes
	.byte	17                              ; DW_AT_low_pc
	.byte	1                               ; DW_FORM_addr
	.byte	18                              ; DW_AT_high_pc
	.byte	6                               ; DW_FORM_data4
	.byte	49                              ; DW_AT_abstract_origin
	.byte	19                              ; DW_FORM_ref4
	.byte	0                               ; EOM(1)
	.byte	0                               ; EOM(2)
	.byte	4                               ; Abbreviation Code
	.byte	29                              ; DW_TAG_inlined_subroutine
	.byte	0                               ; DW_CHILDREN_no
	.byte	49                              ; DW_AT_abstract_origin
	.byte	19                              ; DW_FORM_ref4
	.byte	17                              ; DW_AT_low_pc
	.byte	1                               ; DW_FORM_addr
	.byte	18                              ; DW_AT_high_pc
	.byte	6                               ; DW_FORM_data4
	.byte	88                              ; DW_AT_call_file
	.byte	11                              ; DW_FORM_data1
	.byte	89                              ; DW_AT_call_line
	.byte	11                              ; DW_FORM_data1
	.byte	87                              ; DW_AT_call_column
	.byte	11                              ; DW_FORM_data1
	.byte	0                               ; EOM(1)
	.byte	0                               ; EOM(2)
	.byte	5                               ; Abbreviation Code
	.byte	29                              ; DW_TAG_inlined_subroutine
	.byte	0                               ; DW_CHILDREN_no
	.byte	49                              ; DW_AT_abstract_origin
	.byte	19                              ; DW_FORM_ref4
	.byte	85                              ; DW_AT_ranges
	.byte	23                              ; DW_FORM_sec_offset
	.byte	88                              ; DW_AT_call_file
	.byte	11                              ; DW_FORM_data1
	.byte	89                              ; DW_AT_call_line
	.byte	11                              ; DW_FORM_data1
	.byte	87                              ; DW_AT_call_column
	.byte	11                              ; DW_FORM_data1
	.byte	0                               ; EOM(1)
	.byte	0                               ; EOM(2)
	;; [unrolled: 1-line block ×3, first 2 shown]
	.section	.debug_info,"",@progbits
.Lcu_begin0:
	.long	.Ldebug_info_end0-.Ldebug_info_start0 ; Length of Unit
.Ldebug_info_start0:
	.short	4                               ; DWARF version number
	.long	.debug_abbrev                   ; Offset Into Abbrev. Section
	.byte	8                               ; Address Size (in bytes)
	.byte	1                               ; Abbrev [1] 0xb:0x58 DW_TAG_compile_unit
	.long	.Linfo_string0                  ; DW_AT_producer
	.short	2                               ; DW_AT_language
	.long	.Linfo_string1                  ; DW_AT_name
	.long	.Lline_table_start0             ; DW_AT_stmt_list
	.long	.Linfo_string2                  ; DW_AT_comp_dir
	.quad	.Lfunc_begin0                   ; DW_AT_low_pc
	.long	.Lfunc_end0-.Lfunc_begin0       ; DW_AT_high_pc
	.byte	2                               ; Abbrev [2] 0x2a:0x6 DW_TAG_subprogram
	.long	.Linfo_string3                  ; DW_AT_name
	.byte	1                               ; DW_AT_inline
	.byte	3                               ; Abbrev [3] 0x30:0x32 DW_TAG_subprogram
	.quad	.Lfunc_begin0                   ; DW_AT_low_pc
	.long	.Lfunc_end0-.Lfunc_begin0       ; DW_AT_high_pc
	.long	42                              ; DW_AT_abstract_origin
	.byte	4                               ; Abbrev [4] 0x41:0x14 DW_TAG_inlined_subroutine
	.long	42                              ; DW_AT_abstract_origin
	.quad	.Ltmp2                          ; DW_AT_low_pc
	.long	.Ltmp3-.Ltmp2                   ; DW_AT_high_pc
	.byte	1                               ; DW_AT_call_file
	.byte	77                              ; DW_AT_call_line
	.byte	17                              ; DW_AT_call_column
	.byte	5                               ; Abbrev [5] 0x55:0xc DW_TAG_inlined_subroutine
	.long	42                              ; DW_AT_abstract_origin
	.long	.Ldebug_ranges0                 ; DW_AT_ranges
	.byte	1                               ; DW_AT_call_file
	.byte	169                             ; DW_AT_call_line
	.byte	15                              ; DW_AT_call_column
	.byte	0                               ; End Of Children Mark
	.byte	0                               ; End Of Children Mark
.Ldebug_info_end0:
	.section	.debug_ranges,"",@progbits
.Ldebug_ranges0:
	.quad	.Ltmp4-.Lfunc_begin0
	.quad	.Ltmp5-.Lfunc_begin0
	;; [unrolled: 1-line block ×4, first 2 shown]
	.quad	0
	.quad	0
	.section	.debug_str,"MS",@progbits,1
.Linfo_string0:
	.asciz	"triton"                        ; string offset=0 ; triton
.Linfo_string1:
	.asciz	"matmul_kernel.py"              ; string offset=7 ; matmul_kernel.py
.Linfo_string2:
	.asciz	"kernels/gemm/a16w16/v5_local_prefetch" ; string offset=24 ; kernels/gemm/a16w16/v5_local_prefetch
.Linfo_string3:
	.asciz	"v5_local_prefetch"             ; string offset=96 ; v5_local_prefetch
	.section	".note.GNU-stack","",@progbits
	.amdgpu_metadata
---
amdhsa.kernels:
  - .agpr_count:     254
    .args:
      - .address_space:  global
        .offset:         0
        .size:           8
        .value_kind:     global_buffer
      - .address_space:  global
        .offset:         8
        .size:           8
        .value_kind:     global_buffer
      - .address_space:  global
        .offset:         16
        .size:           8
        .value_kind:     global_buffer
      - .offset:         24
        .size:           4
        .value_kind:     by_value
      - .offset:         28
        .size:           4
        .value_kind:     by_value
      - .offset:         32
        .size:           4
        .value_kind:     by_value
      - .offset:         36
        .size:           4
        .value_kind:     by_value
      - .offset:         40
        .size:           4
        .value_kind:     by_value
      - .offset:         44
        .size:           4
        .value_kind:     by_value
      - .address_space:  global
        .offset:         48
        .size:           8
        .value_kind:     global_buffer
      - .address_space:  global
        .offset:         56
        .size:           8
        .value_kind:     global_buffer
      - .offset:         64
        .size:           4
        .value_kind:     hidden_block_count_x
      - .offset:         68
        .size:           4
        .value_kind:     hidden_block_count_y
      - .offset:         72
        .size:           4
        .value_kind:     hidden_block_count_z
      - .offset:         76
        .size:           2
        .value_kind:     hidden_group_size_x
      - .offset:         78
        .size:           2
        .value_kind:     hidden_group_size_y
      - .offset:         80
        .size:           2
        .value_kind:     hidden_group_size_z
      - .offset:         82
        .size:           2
        .value_kind:     hidden_remainder_x
      - .offset:         84
        .size:           2
        .value_kind:     hidden_remainder_y
      - .offset:         86
        .size:           2
        .value_kind:     hidden_remainder_z
      - .offset:         104
        .size:           8
        .value_kind:     hidden_global_offset_x
      - .offset:         112
        .size:           8
        .value_kind:     hidden_global_offset_y
      - .offset:         120
        .size:           8
        .value_kind:     hidden_global_offset_z
      - .offset:         128
        .size:           2
        .value_kind:     hidden_grid_dims
      - .offset:         144
        .size:           8
        .value_kind:     hidden_hostcall_buffer
      - .offset:         152
        .size:           8
        .value_kind:     hidden_multigrid_sync_arg
      - .offset:         160
        .size:           8
        .value_kind:     hidden_heap_v1
      - .offset:         168
        .size:           8
        .value_kind:     hidden_default_queue
      - .offset:         176
        .size:           8
        .value_kind:     hidden_completion_action
      - .offset:         184
        .size:           4
        .value_kind:     hidden_dynamic_lds_size
      - .offset:         264
        .size:           8
        .value_kind:     hidden_queue_ptr
    .group_segment_fixed_size: 0
    .kernarg_segment_align: 8
    .kernarg_segment_size: 320
    .max_flat_workgroup_size: 256
    .name:           v5_local_prefetch
    .private_segment_fixed_size: 0
    .sgpr_count:     106
    .sgpr_spill_count: 46
    .symbol:         v5_local_prefetch.kd
    .uniform_work_group_size: 1
    .uses_dynamic_stack: false
    .vgpr_count:     510
    .vgpr_spill_count: 0
    .wavefront_size: 64
amdhsa.target:   amdgcn-amd-amdhsa--gfx950
amdhsa.version:
  - 1
  - 2
...

	.end_amdgpu_metadata
	.section	.debug_line,"",@progbits
.Lline_table_start0:
